;; amdgpu-corpus repo=ROCm/rocFFT kind=compiled arch=gfx906 opt=O3
	.text
	.amdgcn_target "amdgcn-amd-amdhsa--gfx906"
	.amdhsa_code_object_version 6
	.protected	fft_rtc_back_len104_factors_4_13_2_wgs_208_tpt_26_dim2_dp_ip_CI_sbcc_twdbase8_2step_dirReg_intrinsicReadWrite ; -- Begin function fft_rtc_back_len104_factors_4_13_2_wgs_208_tpt_26_dim2_dp_ip_CI_sbcc_twdbase8_2step_dirReg_intrinsicReadWrite
	.globl	fft_rtc_back_len104_factors_4_13_2_wgs_208_tpt_26_dim2_dp_ip_CI_sbcc_twdbase8_2step_dirReg_intrinsicReadWrite
	.p2align	8
	.type	fft_rtc_back_len104_factors_4_13_2_wgs_208_tpt_26_dim2_dp_ip_CI_sbcc_twdbase8_2step_dirReg_intrinsicReadWrite,@function
fft_rtc_back_len104_factors_4_13_2_wgs_208_tpt_26_dim2_dp_ip_CI_sbcc_twdbase8_2step_dirReg_intrinsicReadWrite: ; @fft_rtc_back_len104_factors_4_13_2_wgs_208_tpt_26_dim2_dp_ip_CI_sbcc_twdbase8_2step_dirReg_intrinsicReadWrite
; %bb.0:
	s_load_dwordx4 s[0:3], s[4:5], 0x10
	s_mov_b32 s7, 0
	s_mov_b64 s[14:15], 0
	s_waitcnt lgkmcnt(0)
	s_load_dwordx2 s[10:11], s[0:1], 0x8
	s_load_dwordx2 s[8:9], s[4:5], 0x50
	;; [unrolled: 1-line block ×3, first 2 shown]
	s_waitcnt lgkmcnt(0)
	s_add_u32 s0, s10, -1
	s_addc_u32 s1, s11, -1
	s_lshr_b64 s[0:1], s[0:1], 3
	s_add_u32 s0, s0, 1
	s_addc_u32 s1, s1, 0
	v_mov_b32_e32 v2, s1
	v_mov_b32_e32 v1, s0
	v_cmp_lt_u64_e32 vcc, s[6:7], v[1:2]
	s_cbranch_vccnz .LBB0_2
; %bb.1:
	v_cvt_f32_u32_e32 v1, s0
	s_sub_i32 s7, 0, s0
	v_rcp_iflag_f32_e32 v1, v1
	v_mul_f32_e32 v1, 0x4f7ffffe, v1
	v_cvt_u32_f32_e32 v1, v1
	v_readfirstlane_b32 s13, v1
	s_mul_i32 s7, s7, s13
	s_mul_hi_u32 s7, s13, s7
	s_add_i32 s13, s13, s7
	s_mul_hi_u32 s7, s6, s13
	s_mul_i32 s14, s7, s0
	s_sub_i32 s14, s6, s14
	s_add_i32 s13, s7, 1
	s_sub_i32 s15, s14, s0
	s_cmp_ge_u32 s14, s0
	s_cselect_b32 s7, s13, s7
	s_cselect_b32 s14, s15, s14
	s_add_i32 s13, s7, 1
	s_cmp_ge_u32 s14, s0
	s_cselect_b32 s14, s13, s7
.LBB0_2:
	s_mul_i32 s1, s14, s1
	s_mul_hi_u32 s7, s14, s0
	s_load_dwordx4 s[16:19], s[2:3], 0x8
	s_add_i32 s7, s7, s1
	s_mul_i32 s0, s14, s0
	s_sub_u32 s0, s6, s0
	s_subb_u32 s1, 0, s7
	s_lshl_b64 s[0:1], s[0:1], 3
	s_waitcnt lgkmcnt(0)
	s_mul_i32 s2, s0, s16
	s_mul_i32 s3, s18, s14
	s_add_i32 s6, s3, s2
	v_and_b32_e32 v23, 7, v0
	v_or_b32_e32 v55, s0, v23
	s_add_u32 s0, s0, 8
	v_lshrrev_b32_e32 v124, 3, v0
	v_mad_u64_u32 v[53:54], s[2:3], s16, v23, 0
	v_mov_b32_e32 v1, s10
	v_mov_b32_e32 v56, s1
	s_addc_u32 s1, s1, 0
	v_mul_lo_u32 v3, s12, v124
	v_mov_b32_e32 v2, s11
	v_add_u32_e32 v54, 26, v124
	v_cmp_le_u64_e32 vcc, s[0:1], v[1:2]
	v_mul_lo_u32 v2, s12, v54
	v_cmp_gt_u64_e64 s[0:1], s[10:11], v[55:56]
	v_add_lshl_u32 v1, v53, v3, 4
	s_or_b64 vcc, vcc, s[0:1]
	v_cndmask_b32_e32 v17, -1, v1, vcc
	v_add_lshl_u32 v1, v53, v2, 4
	v_add_u32_e32 v2, 52, v124
	v_mul_lo_u32 v2, s12, v2
	v_cndmask_b32_e32 v18, -1, v1, vcc
	v_add_u32_e32 v1, 0x4e, v124
	v_mul_lo_u32 v5, s12, v1
	v_add_lshl_u32 v1, v53, v2, 4
	s_lshl_b32 s13, s6, 4
	s_mov_b32 s11, 0x20000
	s_mov_b32 s10, -2
	v_cndmask_b32_e32 v1, -1, v1, vcc
	v_add_lshl_u32 v5, v53, v5, 4
	buffer_load_dwordx4 v[1:4], v1, s[8:11], s13 offen
	v_cndmask_b32_e32 v19, -1, v5, vcc
	buffer_load_dwordx4 v[5:8], v17, s[8:11], s13 offen
	buffer_load_dwordx4 v[9:12], v18, s[8:11], s13 offen
	buffer_load_dwordx4 v[13:16], v19, s[8:11], s13 offen
	s_load_dwordx2 s[2:3], s[4:5], 0x0
	v_lshlrev_b32_e32 v125, 4, v23
	v_cmp_gt_u32_e64 s[0:1], 64, v0
                                        ; implicit-def: $vgpr51_vgpr52
                                        ; implicit-def: $vgpr47_vgpr48
                                        ; implicit-def: $vgpr39_vgpr40
                                        ; implicit-def: $vgpr43_vgpr44
                                        ; implicit-def: $vgpr35_vgpr36
                                        ; implicit-def: $vgpr31_vgpr32
                                        ; implicit-def: $vgpr27_vgpr28
                                        ; implicit-def: $vgpr23_vgpr24
	s_waitcnt vmcnt(2)
	v_add_f64 v[1:2], v[5:6], -v[1:2]
	v_add_f64 v[3:4], v[7:8], -v[3:4]
	s_waitcnt vmcnt(0)
	v_add_f64 v[17:18], v[9:10], -v[13:14]
	v_add_f64 v[13:14], v[11:12], -v[15:16]
	v_fma_f64 v[19:20], v[5:6], 2.0, -v[1:2]
	v_fma_f64 v[21:22], v[7:8], 2.0, -v[3:4]
	;; [unrolled: 1-line block ×4, first 2 shown]
	v_add_f64 v[13:14], v[1:2], v[13:14]
	v_add_f64 v[15:16], v[3:4], -v[17:18]
	v_lshlrev_b32_e32 v17, 9, v124
	v_add3_u32 v17, 0, v17, v125
	v_add_f64 v[9:10], v[19:20], -v[5:6]
	v_add_f64 v[11:12], v[21:22], -v[7:8]
	v_fma_f64 v[5:6], v[1:2], 2.0, -v[13:14]
	v_fma_f64 v[7:8], v[3:4], 2.0, -v[15:16]
	;; [unrolled: 1-line block ×4, first 2 shown]
	ds_write_b128 v17, v[13:16] offset:384
	ds_write_b128 v17, v[5:8] offset:128
	;; [unrolled: 1-line block ×3, first 2 shown]
	ds_write_b128 v17, v[1:4]
	s_waitcnt lgkmcnt(0)
	s_barrier
	s_waitcnt lgkmcnt(0)
                                        ; implicit-def: $vgpr19_vgpr20
	s_and_saveexec_b64 s[6:7], s[0:1]
	s_cbranch_execz .LBB0_4
; %bb.3:
	v_and_b32_e32 v1, 56, v0
	v_lshlrev_b32_e32 v1, 4, v1
	v_add3_u32 v49, 0, v1, v125
	ds_read_b128 v[1:4], v49
	ds_read_b128 v[5:8], v49 offset:1024
	ds_read_b128 v[9:12], v49 offset:2048
	;; [unrolled: 1-line block ×12, first 2 shown]
.LBB0_4:
	s_or_b64 exec, exec, s[6:7]
	s_waitcnt lgkmcnt(0)
	s_barrier
	s_and_saveexec_b64 s[6:7], s[0:1]
	s_cbranch_execz .LBB0_6
; %bb.5:
	v_bfe_u32 v126, v0, 3, 2
	v_mul_u32_u24_e32 v56, 12, v126
	v_lshlrev_b32_e32 v64, 4, v56
	global_load_dwordx4 v[56:59], v64, s[2:3] offset:80
	global_load_dwordx4 v[60:63], v64, s[2:3] offset:96
	;; [unrolled: 1-line block ×10, first 2 shown]
	global_load_dwordx4 v[114:117], v64, s[2:3]
	global_load_dwordx4 v[118:121], v64, s[2:3] offset:176
	s_mov_b32 s10, 0x4bc48dbf
	s_mov_b32 s11, 0xbfcea1e5
	;; [unrolled: 1-line block ×32, first 2 shown]
	s_waitcnt vmcnt(11)
	v_mul_f64 v[64:65], v[27:28], v[58:59]
	v_mul_f64 v[58:59], v[25:26], v[58:59]
	s_waitcnt vmcnt(10)
	v_mul_f64 v[80:81], v[31:32], v[62:63]
	v_mul_f64 v[62:63], v[29:30], v[62:63]
	s_waitcnt vmcnt(8)
	v_mul_f64 v[88:89], v[35:36], v[72:73]
	s_waitcnt vmcnt(6)
	;; [unrolled: 2-line block ×6, first 2 shown]
	v_mul_f64 v[127:128], v[47:48], v[112:113]
	v_mul_f64 v[129:130], v[45:46], v[112:113]
	s_waitcnt vmcnt(1)
	v_mul_f64 v[112:113], v[7:8], v[116:117]
	s_waitcnt vmcnt(0)
	v_mul_f64 v[131:132], v[51:52], v[120:121]
	v_mul_f64 v[116:117], v[5:6], v[116:117]
	;; [unrolled: 1-line block ×3, first 2 shown]
	v_fma_f64 v[64:65], v[25:26], v[56:57], v[64:65]
	v_mul_f64 v[102:103], v[37:38], v[102:103]
	v_mul_f64 v[108:109], v[9:10], v[108:109]
	v_fma_f64 v[74:75], v[27:28], v[56:57], -v[58:59]
	v_fma_f64 v[112:113], v[5:6], v[114:115], v[112:113]
	v_fma_f64 v[25:26], v[49:50], v[118:119], v[131:132]
	;; [unrolled: 1-line block ×4, first 2 shown]
	v_fma_f64 v[114:115], v[7:8], v[114:115], -v[116:117]
	v_fma_f64 v[27:28], v[51:52], v[118:119], -v[120:121]
	v_fma_f64 v[29:30], v[45:46], v[110:111], v[127:128]
	v_fma_f64 v[37:38], v[37:38], v[100:101], v[122:123]
	v_mul_f64 v[72:73], v[33:34], v[72:73]
	v_add_f64 v[122:123], v[112:113], -v[25:26]
	v_mul_f64 v[90:91], v[19:20], v[78:79]
	v_mul_f64 v[78:79], v[17:18], v[78:79]
	;; [unrolled: 1-line block ×3, first 2 shown]
	v_fma_f64 v[62:63], v[31:32], v[60:61], -v[62:63]
	v_fma_f64 v[56:57], v[33:34], v[70:71], v[88:89]
	v_fma_f64 v[33:34], v[41:42], v[84:85], v[92:93]
	v_fma_f64 v[92:93], v[13:14], v[94:95], v[98:99]
	v_fma_f64 v[108:109], v[11:12], v[106:107], -v[108:109]
	v_fma_f64 v[31:32], v[47:48], v[110:111], -v[129:130]
	v_add_f64 v[118:119], v[114:115], v[27:28]
	v_add_f64 v[110:111], v[104:105], -v[29:30]
	v_mul_f64 v[5:6], v[122:123], s[10:11]
	v_mul_f64 v[82:83], v[23:24], v[68:69]
	;; [unrolled: 1-line block ×4, first 2 shown]
	v_fma_f64 v[88:89], v[17:18], v[76:77], v[90:91]
	v_fma_f64 v[90:91], v[19:20], v[76:77], -v[78:79]
	v_fma_f64 v[98:99], v[15:16], v[94:95], -v[96:97]
	;; [unrolled: 1-line block ×3, first 2 shown]
	v_add_f64 v[120:121], v[114:115], -v[27:28]
	v_add_f64 v[76:77], v[108:109], v[31:32]
	v_add_f64 v[102:103], v[92:93], -v[37:38]
	v_mul_f64 v[9:10], v[110:111], s[22:23]
	v_fma_f64 v[11:12], v[118:119], s[0:1], v[5:6]
	v_fma_f64 v[80:81], v[21:22], v[66:67], v[82:83]
	v_fma_f64 v[82:83], v[23:24], v[66:67], -v[68:69]
	v_fma_f64 v[60:61], v[35:36], v[70:71], -v[72:73]
	;; [unrolled: 1-line block ×3, first 2 shown]
	v_add_f64 v[116:117], v[112:113], v[25:26]
	v_add_f64 v[106:107], v[108:109], -v[31:32]
	v_add_f64 v[68:69], v[98:99], v[39:40]
	v_add_f64 v[96:97], v[88:89], -v[33:34]
	v_mul_f64 v[7:8], v[120:121], s[10:11]
	v_mul_f64 v[15:16], v[102:103], s[18:19]
	v_fma_f64 v[127:128], v[76:77], s[14:15], v[9:10]
	v_add_f64 v[11:12], v[3:4], v[11:12]
	v_add_f64 v[78:79], v[104:105], v[29:30]
	v_add_f64 v[100:101], v[98:99], -v[39:40]
	v_add_f64 v[49:50], v[90:91], v[35:36]
	v_add_f64 v[84:85], v[80:81], -v[56:57]
	v_mul_f64 v[13:14], v[106:107], s[22:23]
	v_mul_f64 v[19:20], v[96:97], s[36:37]
	v_fma_f64 v[23:24], v[116:117], s[0:1], -v[7:8]
	v_fma_f64 v[139:140], v[68:69], s[16:17], v[15:16]
	v_add_f64 v[11:12], v[127:128], v[11:12]
	v_fma_f64 v[5:6], v[118:119], s[0:1], -v[5:6]
	v_add_f64 v[70:71], v[92:93], v[37:38]
	v_add_f64 v[94:95], v[90:91], -v[35:36]
	v_add_f64 v[45:46], v[82:83], v[60:61]
	v_add_f64 v[66:67], v[64:65], -v[58:59]
	v_mul_f64 v[17:18], v[100:101], s[18:19]
	v_mul_f64 v[129:130], v[84:85], s[28:29]
	v_fma_f64 v[137:138], v[78:79], s[14:15], -v[13:14]
	v_add_f64 v[23:24], v[1:2], v[23:24]
	v_fma_f64 v[147:148], v[49:50], s[20:21], v[19:20]
	v_add_f64 v[11:12], v[139:140], v[11:12]
	v_fma_f64 v[9:10], v[76:77], s[14:15], -v[9:10]
	v_fma_f64 v[7:8], v[116:117], s[0:1], v[7:8]
	v_add_f64 v[5:6], v[3:4], v[5:6]
	v_add_f64 v[51:52], v[88:89], v[33:34]
	v_add_f64 v[86:87], v[82:83], -v[60:61]
	v_add_f64 v[41:42], v[74:75], v[62:63]
	v_mul_f64 v[21:22], v[94:95], s[36:37]
	v_mul_f64 v[133:134], v[66:67], s[34:35]
	;; [unrolled: 1-line block ×3, first 2 shown]
	v_fma_f64 v[145:146], v[70:71], s[16:17], -v[17:18]
	v_add_f64 v[23:24], v[137:138], v[23:24]
	v_fma_f64 v[139:140], v[45:46], s[24:25], v[129:130]
	v_add_f64 v[11:12], v[147:148], v[11:12]
	v_fma_f64 v[13:14], v[78:79], s[14:15], v[13:14]
	v_fma_f64 v[15:16], v[68:69], s[16:17], -v[15:16]
	v_add_f64 v[7:8], v[1:2], v[7:8]
	v_add_f64 v[5:6], v[9:10], v[5:6]
	;; [unrolled: 1-line block ×3, first 2 shown]
	v_add_f64 v[72:73], v[74:75], -v[62:63]
	v_mul_f64 v[131:132], v[86:87], s[28:29]
	v_mul_f64 v[141:142], v[110:111], s[34:35]
	;; [unrolled: 1-line block ×3, first 2 shown]
	v_fma_f64 v[137:138], v[51:52], s[20:21], -v[21:22]
	v_add_f64 v[23:24], v[145:146], v[23:24]
	v_fma_f64 v[145:146], v[41:42], s[26:27], v[133:134]
	v_fma_f64 v[9:10], v[118:119], s[16:17], v[127:128]
	v_add_f64 v[11:12], v[139:140], v[11:12]
	v_fma_f64 v[17:18], v[70:71], s[16:17], v[17:18]
	v_fma_f64 v[19:20], v[49:50], s[20:21], -v[19:20]
	v_add_f64 v[13:14], v[13:14], v[7:8]
	v_add_f64 v[5:6], v[15:16], v[5:6]
	;; [unrolled: 1-line block ×3, first 2 shown]
	v_mul_f64 v[135:136], v[72:73], s[34:35]
	v_fma_f64 v[149:150], v[47:48], s[24:25], -v[131:132]
	v_add_f64 v[23:24], v[137:138], v[23:24]
	v_fma_f64 v[137:138], v[76:77], s[26:27], v[141:142]
	v_add_f64 v[9:10], v[3:4], v[9:10]
	v_add_f64 v[7:8], v[145:146], v[11:12]
	v_mul_f64 v[11:12], v[102:103], s[30:31]
	v_add_f64 v[13:14], v[17:18], v[13:14]
	v_add_f64 v[17:18], v[19:20], v[5:6]
	v_fma_f64 v[5:6], v[116:117], s[16:17], -v[143:144]
	v_mul_f64 v[19:20], v[106:107], s[34:35]
	v_add_f64 v[15:16], v[149:150], v[23:24]
	v_fma_f64 v[23:24], v[43:44], s[26:27], -v[135:136]
	v_fma_f64 v[21:22], v[51:52], s[20:21], v[21:22]
	v_add_f64 v[9:10], v[137:138], v[9:10]
	v_fma_f64 v[137:138], v[68:69], s[20:21], v[11:12]
	v_mul_f64 v[139:140], v[96:97], s[42:43]
	v_add_f64 v[5:6], v[1:2], v[5:6]
	v_fma_f64 v[145:146], v[78:79], s[26:27], -v[19:20]
	v_mul_f64 v[147:148], v[100:101], s[30:31]
	v_fma_f64 v[129:130], v[45:46], s[24:25], -v[129:130]
	v_add_f64 v[13:14], v[21:22], v[13:14]
	v_fma_f64 v[21:22], v[47:48], s[24:25], v[131:132]
	v_add_f64 v[9:10], v[137:138], v[9:10]
	v_fma_f64 v[131:132], v[49:50], s[0:1], v[139:140]
	v_mul_f64 v[137:138], v[84:85], s[22:23]
	v_add_f64 v[145:146], v[145:146], v[5:6]
	v_fma_f64 v[149:150], v[70:71], s[20:21], -v[147:148]
	v_mul_f64 v[151:152], v[94:95], s[42:43]
	v_add_f64 v[5:6], v[23:24], v[15:16]
	v_add_f64 v[15:16], v[129:130], v[17:18]
	v_fma_f64 v[17:18], v[118:119], s[16:17], -v[127:128]
	v_add_f64 v[13:14], v[21:22], v[13:14]
	v_add_f64 v[9:10], v[131:132], v[9:10]
	v_fma_f64 v[21:22], v[45:46], s[14:15], v[137:138]
	v_add_f64 v[23:24], v[149:150], v[145:146]
	v_fma_f64 v[127:128], v[51:52], s[0:1], -v[151:152]
	v_mul_f64 v[129:130], v[86:87], s[22:23]
	v_mul_f64 v[131:132], v[66:67], s[28:29]
	v_fma_f64 v[141:142], v[76:77], s[26:27], -v[141:142]
	v_add_f64 v[17:18], v[3:4], v[17:18]
	v_fma_f64 v[133:134], v[41:42], s[26:27], -v[133:134]
	v_fma_f64 v[135:136], v[43:44], s[26:27], v[135:136]
	v_add_f64 v[21:22], v[21:22], v[9:10]
	v_add_f64 v[23:24], v[127:128], v[23:24]
	v_fma_f64 v[127:128], v[47:48], s[14:15], -v[129:130]
	v_fma_f64 v[145:146], v[41:42], s[24:25], v[131:132]
	v_mul_f64 v[149:150], v[72:73], s[28:29]
	v_add_f64 v[17:18], v[141:142], v[17:18]
	v_fma_f64 v[141:142], v[68:69], s[20:21], -v[11:12]
	v_add_f64 v[11:12], v[133:134], v[15:16]
	v_fma_f64 v[133:134], v[116:117], s[16:17], v[143:144]
	v_add_f64 v[9:10], v[135:136], v[13:14]
	v_add_f64 v[13:14], v[127:128], v[23:24]
	;; [unrolled: 1-line block ×3, first 2 shown]
	v_fma_f64 v[21:22], v[43:44], s[24:25], -v[149:150]
	v_mul_f64 v[23:24], v[122:123], s[28:29]
	v_fma_f64 v[19:20], v[78:79], s[26:27], v[19:20]
	v_mul_f64 v[135:136], v[120:121], s[28:29]
	v_add_f64 v[127:128], v[1:2], v[133:134]
	v_add_f64 v[17:18], v[141:142], v[17:18]
	v_fma_f64 v[133:134], v[49:50], s[0:1], -v[139:140]
	v_mul_f64 v[141:142], v[110:111], s[40:41]
	v_add_f64 v[13:14], v[21:22], v[13:14]
	v_fma_f64 v[139:140], v[118:119], s[24:25], v[23:24]
	v_fma_f64 v[21:22], v[70:71], s[20:21], v[147:148]
	v_mul_f64 v[143:144], v[106:107], s[40:41]
	v_add_f64 v[19:20], v[19:20], v[127:128]
	v_fma_f64 v[127:128], v[116:117], s[24:25], -v[135:136]
	v_add_f64 v[17:18], v[133:134], v[17:18]
	v_mul_f64 v[145:146], v[102:103], s[22:23]
	v_mul_f64 v[147:148], v[100:101], s[22:23]
	v_add_f64 v[133:134], v[3:4], v[139:140]
	v_fma_f64 v[139:140], v[76:77], s[16:17], v[141:142]
	v_fma_f64 v[151:152], v[51:52], s[0:1], v[151:152]
	v_add_f64 v[19:20], v[21:22], v[19:20]
	v_add_f64 v[21:22], v[1:2], v[127:128]
	v_fma_f64 v[127:128], v[78:79], s[16:17], -v[143:144]
	v_fma_f64 v[137:138], v[45:46], s[14:15], -v[137:138]
	v_mul_f64 v[153:154], v[96:97], s[38:39]
	v_mul_f64 v[155:156], v[94:95], s[38:39]
	v_add_f64 v[133:134], v[139:140], v[133:134]
	v_fma_f64 v[139:140], v[68:69], s[14:15], v[145:146]
	v_add_f64 v[19:20], v[151:152], v[19:20]
	v_fma_f64 v[129:130], v[47:48], s[14:15], v[129:130]
	v_add_f64 v[21:22], v[127:128], v[21:22]
	v_fma_f64 v[127:128], v[70:71], s[14:15], -v[147:148]
	v_add_f64 v[17:18], v[137:138], v[17:18]
	v_fma_f64 v[137:138], v[49:50], s[26:27], v[153:154]
	v_mul_f64 v[151:152], v[86:87], s[42:43]
	v_add_f64 v[133:134], v[139:140], v[133:134]
	v_mul_f64 v[139:140], v[84:85], s[42:43]
	v_add_f64 v[129:130], v[129:130], v[19:20]
	v_fma_f64 v[19:20], v[41:42], s[24:25], -v[131:132]
	v_add_f64 v[21:22], v[127:128], v[21:22]
	v_fma_f64 v[127:128], v[51:52], s[26:27], -v[155:156]
	v_fma_f64 v[131:132], v[43:44], s[24:25], v[149:150]
	v_fma_f64 v[23:24], v[118:119], s[24:25], -v[23:24]
	v_add_f64 v[133:134], v[137:138], v[133:134]
	v_fma_f64 v[137:138], v[45:46], s[0:1], v[139:140]
	v_mul_f64 v[149:150], v[66:67], s[36:37]
	v_add_f64 v[19:20], v[19:20], v[17:18]
	v_fma_f64 v[141:142], v[76:77], s[16:17], -v[141:142]
	v_add_f64 v[21:22], v[127:128], v[21:22]
	v_fma_f64 v[127:128], v[47:48], s[0:1], -v[151:152]
	v_add_f64 v[23:24], v[3:4], v[23:24]
	v_add_f64 v[17:18], v[131:132], v[129:130]
	v_fma_f64 v[131:132], v[116:117], s[24:25], v[135:136]
	v_add_f64 v[129:130], v[137:138], v[133:134]
	v_mul_f64 v[135:136], v[122:123], s[38:39]
	v_fma_f64 v[143:144], v[78:79], s[16:17], v[143:144]
	v_mul_f64 v[157:158], v[110:111], s[10:11]
	v_add_f64 v[21:22], v[127:128], v[21:22]
	v_fma_f64 v[127:128], v[41:42], s[20:21], v[149:150]
	v_add_f64 v[137:138], v[141:142], v[23:24]
	v_fma_f64 v[141:142], v[68:69], s[14:15], -v[145:146]
	v_add_f64 v[131:132], v[1:2], v[131:132]
	v_mul_f64 v[145:146], v[120:121], s[38:39]
	v_mul_f64 v[133:134], v[72:73], s[36:37]
	s_mov_b32 s37, 0x3fedeba7
	s_mov_b32 s36, s28
	v_add_f64 v[23:24], v[127:128], v[129:130]
	v_fma_f64 v[129:130], v[118:119], s[26:27], v[135:136]
	v_add_f64 v[137:138], v[141:142], v[137:138]
	v_fma_f64 v[141:142], v[49:50], s[26:27], -v[153:154]
	v_add_f64 v[131:132], v[143:144], v[131:132]
	v_fma_f64 v[143:144], v[116:117], s[26:27], -v[145:146]
	v_mul_f64 v[153:154], v[106:107], s[10:11]
	v_fma_f64 v[147:148], v[70:71], s[14:15], v[147:148]
	v_fma_f64 v[159:160], v[76:77], s[0:1], v[157:158]
	v_add_f64 v[129:130], v[3:4], v[129:130]
	v_mul_f64 v[161:162], v[102:103], s[36:37]
	v_mul_f64 v[165:166], v[100:101], s[36:37]
	v_add_f64 v[137:138], v[141:142], v[137:138]
	v_add_f64 v[143:144], v[1:2], v[143:144]
	v_fma_f64 v[163:164], v[78:79], s[0:1], -v[153:154]
	v_add_f64 v[131:132], v[147:148], v[131:132]
	v_fma_f64 v[141:142], v[51:52], s[26:27], v[155:156]
	v_add_f64 v[129:130], v[159:160], v[129:130]
	v_fma_f64 v[147:148], v[68:69], s[24:25], v[161:162]
	v_mul_f64 v[155:156], v[96:97], s[22:23]
	v_fma_f64 v[159:160], v[70:71], s[24:25], -v[165:166]
	v_fma_f64 v[127:128], v[43:44], s[20:21], -v[133:134]
	v_add_f64 v[143:144], v[163:164], v[143:144]
	v_mul_f64 v[163:164], v[94:95], s[22:23]
	v_fma_f64 v[139:140], v[45:46], s[0:1], -v[139:140]
	v_add_f64 v[131:132], v[141:142], v[131:132]
	v_fma_f64 v[141:142], v[47:48], s[0:1], v[151:152]
	v_add_f64 v[129:130], v[147:148], v[129:130]
	v_fma_f64 v[147:148], v[49:50], s[14:15], v[155:156]
	v_mul_f64 v[151:152], v[84:85], s[30:31]
	v_add_f64 v[143:144], v[159:160], v[143:144]
	v_fma_f64 v[159:160], v[51:52], s[14:15], -v[163:164]
	v_mul_f64 v[167:168], v[86:87], s[30:31]
	v_fma_f64 v[135:136], v[118:119], s[26:27], -v[135:136]
	v_add_f64 v[21:22], v[127:128], v[21:22]
	v_add_f64 v[127:128], v[139:140], v[137:138]
	;; [unrolled: 1-line block ×4, first 2 shown]
	v_fma_f64 v[137:138], v[45:46], s[20:21], v[151:152]
	v_add_f64 v[139:140], v[159:160], v[143:144]
	v_fma_f64 v[141:142], v[47:48], s[20:21], -v[167:168]
	v_mul_f64 v[143:144], v[66:67], s[18:19]
	v_mul_f64 v[147:148], v[72:73], s[18:19]
	v_fma_f64 v[149:150], v[41:42], s[20:21], -v[149:150]
	v_fma_f64 v[157:158], v[76:77], s[0:1], -v[157:158]
	v_add_f64 v[135:136], v[3:4], v[135:136]
	v_fma_f64 v[133:134], v[43:44], s[20:21], v[133:134]
	v_add_f64 v[137:138], v[137:138], v[129:130]
	v_add_f64 v[139:140], v[141:142], v[139:140]
	v_fma_f64 v[141:142], v[41:42], s[16:17], v[143:144]
	v_fma_f64 v[159:160], v[43:44], s[16:17], -v[147:148]
	v_add_f64 v[129:130], v[149:150], v[127:128]
	v_mul_f64 v[149:150], v[122:123], s[30:31]
	v_add_f64 v[135:136], v[157:158], v[135:136]
	v_fma_f64 v[157:158], v[68:69], s[24:25], -v[161:162]
	v_mul_f64 v[161:162], v[120:121], s[30:31]
	v_add_f64 v[127:128], v[133:134], v[131:132]
	v_add_f64 v[133:134], v[141:142], v[137:138]
	;; [unrolled: 1-line block ×3, first 2 shown]
	v_fma_f64 v[137:138], v[116:117], s[26:27], v[145:146]
	v_fma_f64 v[139:140], v[118:119], s[20:21], v[149:150]
	v_mul_f64 v[141:142], v[110:111], s[28:29]
	v_add_f64 v[135:136], v[157:158], v[135:136]
	v_fma_f64 v[145:146], v[116:117], s[20:21], -v[161:162]
	v_mul_f64 v[157:158], v[106:107], s[28:29]
	v_fma_f64 v[155:156], v[49:50], s[14:15], -v[155:156]
	v_fma_f64 v[153:154], v[78:79], s[0:1], v[153:154]
	v_add_f64 v[137:138], v[1:2], v[137:138]
	v_add_f64 v[139:140], v[3:4], v[139:140]
	v_fma_f64 v[159:160], v[76:77], s[24:25], v[141:142]
	v_mul_f64 v[169:170], v[102:103], s[10:11]
	v_add_f64 v[145:146], v[1:2], v[145:146]
	v_fma_f64 v[171:172], v[78:79], s[24:25], -v[157:158]
	v_mul_f64 v[173:174], v[100:101], s[10:11]
	v_add_f64 v[135:136], v[155:156], v[135:136]
	v_add_f64 v[137:138], v[153:154], v[137:138]
	v_fma_f64 v[153:154], v[70:71], s[24:25], v[165:166]
	v_add_f64 v[139:140], v[159:160], v[139:140]
	v_fma_f64 v[155:156], v[68:69], s[0:1], v[169:170]
	v_mul_f64 v[159:160], v[96:97], s[40:41]
	v_add_f64 v[145:146], v[171:172], v[145:146]
	v_fma_f64 v[165:166], v[70:71], s[0:1], -v[173:174]
	v_mul_f64 v[171:172], v[94:95], s[40:41]
	v_fma_f64 v[151:152], v[45:46], s[20:21], -v[151:152]
	v_add_f64 v[137:138], v[153:154], v[137:138]
	v_fma_f64 v[153:154], v[51:52], s[14:15], v[163:164]
	v_add_f64 v[139:140], v[155:156], v[139:140]
	v_fma_f64 v[155:156], v[49:50], s[16:17], v[159:160]
	v_mul_f64 v[163:164], v[84:85], s[34:35]
	v_add_f64 v[145:146], v[165:166], v[145:146]
	v_fma_f64 v[165:166], v[51:52], s[16:17], -v[171:172]
	v_mul_f64 v[175:176], v[86:87], s[34:35]
	v_add_f64 v[114:115], v[3:4], v[114:115]
	v_add_f64 v[112:113], v[1:2], v[112:113]
	;; [unrolled: 1-line block ×4, first 2 shown]
	v_fma_f64 v[151:152], v[47:48], s[20:21], v[167:168]
	v_fma_f64 v[143:144], v[41:42], s[16:17], -v[143:144]
	v_add_f64 v[139:140], v[155:156], v[139:140]
	v_fma_f64 v[153:154], v[45:46], s[26:27], v[163:164]
	v_add_f64 v[145:146], v[165:166], v[145:146]
	v_fma_f64 v[155:156], v[47:48], s[26:27], -v[175:176]
	v_mul_f64 v[165:166], v[66:67], s[22:23]
	v_mul_f64 v[167:168], v[72:73], s[22:23]
	v_add_f64 v[108:109], v[114:115], v[108:109]
	v_add_f64 v[104:105], v[112:113], v[104:105]
	s_mov_b32 s23, 0xbfddbe06
	v_add_f64 v[151:152], v[151:152], v[137:138]
	v_add_f64 v[137:138], v[143:144], v[135:136]
	;; [unrolled: 1-line block ×4, first 2 shown]
	v_fma_f64 v[145:146], v[41:42], s[14:15], v[165:166]
	v_fma_f64 v[153:154], v[43:44], s[14:15], -v[167:168]
	v_mul_f64 v[122:123], v[122:123], s[22:23]
	v_add_f64 v[98:99], v[108:109], v[98:99]
	v_add_f64 v[92:93], v[104:105], v[92:93]
	v_fma_f64 v[149:150], v[118:119], s[20:21], -v[149:150]
	v_fma_f64 v[147:148], v[43:44], s[16:17], v[147:148]
	v_fma_f64 v[155:156], v[76:77], s[24:25], -v[141:142]
	v_add_f64 v[141:142], v[145:146], v[139:140]
	v_add_f64 v[139:140], v[153:154], v[143:144]
	v_mul_f64 v[120:121], v[120:121], s[22:23]
	v_fma_f64 v[143:144], v[118:119], s[14:15], v[122:123]
	v_fma_f64 v[118:119], v[118:119], s[14:15], -v[122:123]
	v_mul_f64 v[110:111], v[110:111], s[30:31]
	v_add_f64 v[90:91], v[98:99], v[90:91]
	v_add_f64 v[88:89], v[92:93], v[88:89]
	;; [unrolled: 1-line block ×4, first 2 shown]
	v_fma_f64 v[147:148], v[116:117], s[20:21], v[161:162]
	v_fma_f64 v[151:152], v[116:117], s[14:15], -v[120:121]
	v_fma_f64 v[116:117], v[116:117], s[14:15], v[120:121]
	v_add_f64 v[120:121], v[3:4], v[143:144]
	v_add_f64 v[3:4], v[3:4], v[118:119]
	v_fma_f64 v[104:105], v[76:77], s[20:21], -v[110:111]
	v_mul_f64 v[102:103], v[102:103], s[38:39]
	v_add_f64 v[82:83], v[90:91], v[82:83]
	v_add_f64 v[80:81], v[88:89], v[80:81]
	;; [unrolled: 1-line block ×3, first 2 shown]
	v_fma_f64 v[145:146], v[68:69], s[0:1], -v[169:170]
	v_mul_f64 v[96:97], v[96:97], s[28:29]
	v_fma_f64 v[143:144], v[49:50], s[16:17], -v[159:160]
	v_add_f64 v[3:4], v[104:105], v[3:4]
	v_fma_f64 v[92:93], v[68:69], s[26:27], -v[102:103]
	v_add_f64 v[74:75], v[82:83], v[74:75]
	v_add_f64 v[64:65], v[80:81], v[64:65]
	v_mul_f64 v[106:107], v[106:107], s[30:31]
	v_add_f64 v[122:123], v[145:146], v[122:123]
	v_mul_f64 v[84:85], v[84:85], s[18:19]
	;; [unrolled: 2-line block ×3, first 2 shown]
	v_add_f64 v[3:4], v[92:93], v[3:4]
	v_fma_f64 v[92:93], v[49:50], s[24:25], -v[96:97]
	v_add_f64 v[62:63], v[74:75], v[62:63]
	v_add_f64 v[58:59], v[64:65], v[58:59]
	;; [unrolled: 1-line block ×3, first 2 shown]
	v_fma_f64 v[122:123], v[78:79], s[20:21], v[106:107]
	v_add_f64 v[147:148], v[1:2], v[147:148]
	v_fma_f64 v[149:150], v[78:79], s[24:25], v[157:158]
	v_add_f64 v[1:2], v[1:2], v[151:152]
	v_fma_f64 v[64:65], v[76:77], s[20:21], v[110:111]
	v_fma_f64 v[78:79], v[78:79], s[20:21], -v[106:107]
	v_add_f64 v[3:4], v[92:93], v[3:4]
	v_mul_f64 v[74:75], v[86:87], s[18:19]
	v_fma_f64 v[86:87], v[45:46], s[16:17], -v[84:85]
	v_add_f64 v[60:61], v[62:63], v[60:61]
	v_add_f64 v[56:57], v[58:59], v[56:57]
	;; [unrolled: 1-line block ×3, first 2 shown]
	v_fma_f64 v[90:91], v[70:71], s[26:27], v[98:99]
	v_mul_f64 v[94:95], v[94:95], s[28:29]
	v_add_f64 v[145:146], v[149:150], v[147:148]
	v_fma_f64 v[114:115], v[70:71], s[0:1], v[173:174]
	v_fma_f64 v[58:59], v[68:69], s[26:27], v[102:103]
	v_add_f64 v[64:65], v[64:65], v[120:121]
	v_fma_f64 v[68:69], v[70:71], s[26:27], -v[98:99]
	v_add_f64 v[1:2], v[78:79], v[1:2]
	v_add_f64 v[70:71], v[86:87], v[3:4]
	;; [unrolled: 1-line block ×5, first 2 shown]
	v_fma_f64 v[90:91], v[51:52], s[24:25], v[94:95]
	v_add_f64 v[108:109], v[114:115], v[145:146]
	v_fma_f64 v[114:115], v[51:52], s[16:17], v[171:172]
	v_fma_f64 v[35:36], v[49:50], s[24:25], v[96:97]
	v_add_f64 v[49:50], v[58:59], v[64:65]
	v_fma_f64 v[51:52], v[51:52], s[24:25], -v[94:95]
	v_add_f64 v[1:2], v[68:69], v[1:2]
	v_add_f64 v[3:4], v[3:4], v[39:40]
	;; [unrolled: 1-line block ×4, first 2 shown]
	v_fma_f64 v[62:63], v[47:48], s[16:17], v[74:75]
	v_mul_f64 v[56:57], v[66:67], s[10:11]
	v_mul_f64 v[58:59], v[72:73], s[10:11]
	v_fma_f64 v[118:119], v[45:46], s[26:27], -v[163:164]
	v_add_f64 v[100:101], v[114:115], v[108:109]
	v_fma_f64 v[88:89], v[47:48], s[26:27], v[175:176]
	v_fma_f64 v[37:38], v[45:46], s[16:17], v[84:85]
	v_add_f64 v[35:36], v[35:36], v[49:50]
	v_fma_f64 v[39:40], v[47:48], s[16:17], -v[74:75]
	v_add_f64 v[1:2], v[51:52], v[1:2]
	v_add_f64 v[49:50], v[3:4], v[31:32]
	v_add_f64 v[33:34], v[33:34], v[29:30]
	v_add_f64 v[62:63], v[62:63], v[82:83]
	v_fma_f64 v[45:46], v[41:42], s[0:1], -v[56:57]
	v_fma_f64 v[47:48], v[43:44], s[0:1], v[58:59]
	v_add_f64 v[80:81], v[118:119], v[116:117]
	v_add_f64 v[88:89], v[88:89], v[100:101]
	v_fma_f64 v[76:77], v[41:42], s[14:15], -v[165:166]
	v_fma_f64 v[90:91], v[43:44], s[14:15], v[167:168]
	v_add_f64 v[35:36], v[37:38], v[35:36]
	v_fma_f64 v[37:38], v[43:44], s[0:1], -v[58:59]
	v_add_f64 v[39:40], v[39:40], v[1:2]
	v_fma_f64 v[41:42], v[41:42], s[0:1], v[56:57]
	v_add_f64 v[27:28], v[49:50], v[27:28]
	v_add_f64 v[25:26], v[33:34], v[25:26]
	;; [unrolled: 1-line block ×7, first 2 shown]
	v_lshrrev_b32_e32 v37, 5, v0
	v_mul_u32_u24_e32 v37, 52, v37
	v_or_b32_e32 v37, v37, v126
	v_lshlrev_b32_e32 v37, 7, v37
	v_add3_u32 v37, 0, v37, v125
	v_add_f64 v[35:36], v[41:42], v[35:36]
	ds_write_b128 v37, v[25:28]
	ds_write_b128 v37, v[29:32] offset:512
	ds_write_b128 v37, v[1:4] offset:1024
	;; [unrolled: 1-line block ×12, first 2 shown]
.LBB0_6:
	s_or_b64 exec, exec, s[6:7]
	s_load_dwordx2 s[0:1], s[4:5], 0x8
	s_movk_i32 s4, 0x4f
	v_mul_lo_u16_sdwa v1, v124, s4 dst_sel:DWORD dst_unused:UNUSED_PAD src0_sel:BYTE_0 src1_sel:DWORD
	v_lshrrev_b16_e32 v1, 12, v1
	v_mul_lo_u16_e32 v1, 52, v1
	v_sub_u16_e32 v1, v124, v1
	v_and_b32_e32 v59, 0xff, v1
	v_mul_lo_u16_sdwa v1, v54, s4 dst_sel:DWORD dst_unused:UNUSED_PAD src0_sel:BYTE_0 src1_sel:DWORD
	v_lshrrev_b16_e32 v1, 12, v1
	v_mul_lo_u16_e32 v1, 52, v1
	v_sub_u16_e32 v1, v54, v1
	v_lshlrev_b32_e32 v9, 4, v59
	v_and_b32_e32 v60, 0xff, v1
	s_waitcnt lgkmcnt(0)
	s_barrier
	v_lshlrev_b32_e32 v10, 4, v60
	global_load_dwordx4 v[1:4], v9, s[2:3] offset:768
	global_load_dwordx4 v[5:8], v10, s[2:3] offset:768
	v_mul_lo_u32 v11, v55, v59
	v_add_u32_e32 v10, 52, v59
	v_mul_lo_u32 v18, v55, v10
	v_mul_lo_u32 v26, v55, v60
	v_mov_b32_e32 v33, 4
	v_lshlrev_b32_sdwa v17, v33, v11 dst_sel:DWORD dst_unused:UNUSED_PAD src0_sel:DWORD src1_sel:BYTE_0
	v_bfe_u32 v9, v11, 8, 8
	v_mov_b32_e32 v34, 0x1000
	v_lshl_or_b32 v19, v9, 4, v34
	global_load_dwordx4 v[9:12], v17, s[0:1]
	global_load_dwordx4 v[13:16], v19, s[0:1]
	v_lshlrev_b32_sdwa v25, v33, v18 dst_sel:DWORD dst_unused:UNUSED_PAD src0_sel:DWORD src1_sel:BYTE_0
	v_bfe_u32 v17, v18, 8, 8
	v_lshl_or_b32 v27, v17, 4, v34
	global_load_dwordx4 v[17:20], v25, s[0:1]
	global_load_dwordx4 v[21:24], v27, s[0:1]
	v_lshlrev_b32_sdwa v35, v33, v26 dst_sel:DWORD dst_unused:UNUSED_PAD src0_sel:DWORD src1_sel:BYTE_0
	v_bfe_u32 v25, v26, 8, 8
	v_add_u32_e32 v26, 52, v60
	v_mul_lo_u32 v36, v55, v26
	v_lshl_or_b32 v37, v25, 4, v34
	global_load_dwordx4 v[25:28], v35, s[0:1]
	global_load_dwordx4 v[29:32], v37, s[0:1]
	s_mov_b32 s11, 0x20000
	v_lshlrev_b32_sdwa v41, v33, v36 dst_sel:DWORD dst_unused:UNUSED_PAD src0_sel:DWORD src1_sel:BYTE_0
	v_bfe_u32 v33, v36, 8, 8
	v_lshl_or_b32 v42, v33, 4, v34
	global_load_dwordx4 v[33:36], v41, s[0:1]
	global_load_dwordx4 v[37:40], v42, s[0:1]
	s_movk_i32 s0, 0x4ec5
	v_mul_u32_u24_sdwa v0, v0, s0 dst_sel:DWORD dst_unused:UNUSED_PAD src0_sel:WORD_0 src1_sel:DWORD
	v_lshrrev_b32_e32 v0, 23, v0
	v_mul_lo_u16_e32 v0, 0x68, v0
	v_add_u32_e32 v0, v0, v59
	v_sub_u32_e32 v59, v54, v60
	v_lshlrev_b32_e32 v41, 7, v124
	v_lshlrev_b32_e32 v42, 7, v54
	v_mul_lo_u32 v60, s12, v0
	v_add_u32_e32 v54, v59, v54
	v_add3_u32 v55, 0, v41, v125
	v_add3_u32 v49, 0, v42, v125
	v_mul_lo_u32 v59, s12, v54
	ds_read_b128 v[41:44], v55
	ds_read_b128 v[45:48], v55 offset:6656
	ds_read_b128 v[49:52], v49
	ds_read_b128 v[55:58], v55 offset:9984
	v_add_lshl_u32 v60, v53, v60, 4
	v_cndmask_b32_e32 v71, -1, v60, vcc
	v_add_lshl_u32 v73, v53, v59, 4
	v_add_u32_e32 v0, 52, v0
	v_mul_lo_u32 v0, s12, v0
	v_add_u32_e32 v54, 52, v54
	v_mul_lo_u32 v54, s12, v54
	s_mov_b32 s10, -2
	v_add_lshl_u32 v72, v53, v0, 4
	s_waitcnt vmcnt(9) lgkmcnt(2)
	v_mul_f64 v[59:60], v[47:48], v[3:4]
	v_mul_f64 v[3:4], v[45:46], v[3:4]
	s_waitcnt vmcnt(8) lgkmcnt(0)
	v_mul_f64 v[61:62], v[57:58], v[7:8]
	v_mul_f64 v[7:8], v[55:56], v[7:8]
	v_fma_f64 v[3:4], v[47:48], v[1:2], -v[3:4]
	v_fma_f64 v[0:1], v[45:46], v[1:2], v[59:60]
	s_waitcnt vmcnt(6)
	v_mul_f64 v[63:64], v[11:12], v[15:16]
	v_mul_f64 v[15:16], v[9:10], v[15:16]
	v_fma_f64 v[7:8], v[57:58], v[5:6], -v[7:8]
	v_fma_f64 v[5:6], v[55:56], v[5:6], v[61:62]
	s_waitcnt vmcnt(4)
	v_mul_f64 v[67:68], v[19:20], v[23:24]
	v_mul_f64 v[23:24], v[17:18], v[23:24]
	v_add_f64 v[2:3], v[43:44], -v[3:4]
	v_add_f64 v[0:1], v[41:42], -v[0:1]
	v_fma_f64 v[45:46], v[9:10], v[13:14], -v[63:64]
	v_fma_f64 v[9:10], v[11:12], v[13:14], v[15:16]
	s_waitcnt vmcnt(2)
	v_mul_f64 v[65:66], v[27:28], v[31:32]
	v_mul_f64 v[31:32], v[25:26], v[31:32]
	v_add_f64 v[4:5], v[49:50], -v[5:6]
	v_fma_f64 v[11:12], v[19:20], v[21:22], v[23:24]
	v_fma_f64 v[16:17], v[17:18], v[21:22], -v[67:68]
	s_waitcnt vmcnt(0)
	v_mul_f64 v[69:70], v[35:36], v[39:40]
	v_mul_f64 v[39:40], v[33:34], v[39:40]
	v_fma_f64 v[20:21], v[43:44], 2.0, -v[2:3]
	v_fma_f64 v[14:15], v[25:26], v[29:30], -v[65:66]
	v_add_f64 v[25:26], v[51:52], -v[7:8]
	v_fma_f64 v[22:23], v[41:42], 2.0, -v[0:1]
	v_fma_f64 v[6:7], v[27:28], v[29:30], v[31:32]
	v_fma_f64 v[29:30], v[49:50], 2.0, -v[4:5]
	v_fma_f64 v[31:32], v[33:34], v[37:38], -v[69:70]
	v_fma_f64 v[18:19], v[35:36], v[37:38], v[39:40]
	v_mul_f64 v[33:34], v[2:3], v[11:12]
	v_mul_f64 v[11:12], v[0:1], v[11:12]
	v_fma_f64 v[27:28], v[51:52], 2.0, -v[25:26]
	v_mul_f64 v[37:38], v[20:21], v[9:10]
	v_mul_f64 v[39:40], v[22:23], v[9:10]
	v_mul_f64 v[35:36], v[25:26], v[18:19]
	v_mul_f64 v[18:19], v[4:5], v[18:19]
	v_fma_f64 v[2:3], v[2:3], v[16:17], -v[11:12]
	v_mul_f64 v[41:42], v[27:28], v[6:7]
	v_mul_f64 v[6:7], v[29:30], v[6:7]
	v_fma_f64 v[8:9], v[22:23], v[45:46], v[37:38]
	v_fma_f64 v[10:11], v[20:21], v[45:46], -v[39:40]
	v_fma_f64 v[0:1], v[0:1], v[16:17], v[33:34]
	v_fma_f64 v[4:5], v[4:5], v[31:32], v[35:36]
	v_cndmask_b32_e32 v16, -1, v72, vcc
	v_cndmask_b32_e32 v17, -1, v73, vcc
	v_fma_f64 v[12:13], v[29:30], v[14:15], v[41:42]
	v_fma_f64 v[14:15], v[27:28], v[14:15], -v[6:7]
	v_fma_f64 v[6:7], v[25:26], v[31:32], -v[18:19]
	v_add_lshl_u32 v18, v53, v54, 4
	v_cndmask_b32_e32 v18, -1, v18, vcc
	buffer_store_dwordx4 v[8:11], v71, s[8:11], s13 offen
	buffer_store_dwordx4 v[0:3], v16, s[8:11], s13 offen
	;; [unrolled: 1-line block ×4, first 2 shown]
	s_endpgm
	.section	.rodata,"a",@progbits
	.p2align	6, 0x0
	.amdhsa_kernel fft_rtc_back_len104_factors_4_13_2_wgs_208_tpt_26_dim2_dp_ip_CI_sbcc_twdbase8_2step_dirReg_intrinsicReadWrite
		.amdhsa_group_segment_fixed_size 0
		.amdhsa_private_segment_fixed_size 0
		.amdhsa_kernarg_size 88
		.amdhsa_user_sgpr_count 6
		.amdhsa_user_sgpr_private_segment_buffer 1
		.amdhsa_user_sgpr_dispatch_ptr 0
		.amdhsa_user_sgpr_queue_ptr 0
		.amdhsa_user_sgpr_kernarg_segment_ptr 1
		.amdhsa_user_sgpr_dispatch_id 0
		.amdhsa_user_sgpr_flat_scratch_init 0
		.amdhsa_user_sgpr_private_segment_size 0
		.amdhsa_uses_dynamic_stack 0
		.amdhsa_system_sgpr_private_segment_wavefront_offset 0
		.amdhsa_system_sgpr_workgroup_id_x 1
		.amdhsa_system_sgpr_workgroup_id_y 0
		.amdhsa_system_sgpr_workgroup_id_z 0
		.amdhsa_system_sgpr_workgroup_info 0
		.amdhsa_system_vgpr_workitem_id 0
		.amdhsa_next_free_vgpr 177
		.amdhsa_next_free_sgpr 44
		.amdhsa_reserve_vcc 1
		.amdhsa_reserve_flat_scratch 0
		.amdhsa_float_round_mode_32 0
		.amdhsa_float_round_mode_16_64 0
		.amdhsa_float_denorm_mode_32 3
		.amdhsa_float_denorm_mode_16_64 3
		.amdhsa_dx10_clamp 1
		.amdhsa_ieee_mode 1
		.amdhsa_fp16_overflow 0
		.amdhsa_exception_fp_ieee_invalid_op 0
		.amdhsa_exception_fp_denorm_src 0
		.amdhsa_exception_fp_ieee_div_zero 0
		.amdhsa_exception_fp_ieee_overflow 0
		.amdhsa_exception_fp_ieee_underflow 0
		.amdhsa_exception_fp_ieee_inexact 0
		.amdhsa_exception_int_div_zero 0
	.end_amdhsa_kernel
	.text
.Lfunc_end0:
	.size	fft_rtc_back_len104_factors_4_13_2_wgs_208_tpt_26_dim2_dp_ip_CI_sbcc_twdbase8_2step_dirReg_intrinsicReadWrite, .Lfunc_end0-fft_rtc_back_len104_factors_4_13_2_wgs_208_tpt_26_dim2_dp_ip_CI_sbcc_twdbase8_2step_dirReg_intrinsicReadWrite
                                        ; -- End function
	.section	.AMDGPU.csdata,"",@progbits
; Kernel info:
; codeLenInByte = 5920
; NumSgprs: 48
; NumVgprs: 177
; ScratchSize: 0
; MemoryBound: 0
; FloatMode: 240
; IeeeMode: 1
; LDSByteSize: 0 bytes/workgroup (compile time only)
; SGPRBlocks: 5
; VGPRBlocks: 44
; NumSGPRsForWavesPerEU: 48
; NumVGPRsForWavesPerEU: 177
; Occupancy: 1
; WaveLimiterHint : 0
; COMPUTE_PGM_RSRC2:SCRATCH_EN: 0
; COMPUTE_PGM_RSRC2:USER_SGPR: 6
; COMPUTE_PGM_RSRC2:TRAP_HANDLER: 0
; COMPUTE_PGM_RSRC2:TGID_X_EN: 1
; COMPUTE_PGM_RSRC2:TGID_Y_EN: 0
; COMPUTE_PGM_RSRC2:TGID_Z_EN: 0
; COMPUTE_PGM_RSRC2:TIDIG_COMP_CNT: 0
	.type	__hip_cuid_7e347352ee1ebfb5,@object ; @__hip_cuid_7e347352ee1ebfb5
	.section	.bss,"aw",@nobits
	.globl	__hip_cuid_7e347352ee1ebfb5
__hip_cuid_7e347352ee1ebfb5:
	.byte	0                               ; 0x0
	.size	__hip_cuid_7e347352ee1ebfb5, 1

	.ident	"AMD clang version 19.0.0git (https://github.com/RadeonOpenCompute/llvm-project roc-6.4.0 25133 c7fe45cf4b819c5991fe208aaa96edf142730f1d)"
	.section	".note.GNU-stack","",@progbits
	.addrsig
	.addrsig_sym __hip_cuid_7e347352ee1ebfb5
	.amdgpu_metadata
---
amdhsa.kernels:
  - .args:
      - .actual_access:  read_only
        .address_space:  global
        .offset:         0
        .size:           8
        .value_kind:     global_buffer
      - .address_space:  global
        .offset:         8
        .size:           8
        .value_kind:     global_buffer
      - .actual_access:  read_only
        .address_space:  global
        .offset:         16
        .size:           8
        .value_kind:     global_buffer
      - .actual_access:  read_only
        .address_space:  global
        .offset:         24
        .size:           8
        .value_kind:     global_buffer
      - .offset:         32
        .size:           8
        .value_kind:     by_value
      - .actual_access:  read_only
        .address_space:  global
        .offset:         40
        .size:           8
        .value_kind:     global_buffer
      - .actual_access:  read_only
        .address_space:  global
        .offset:         48
        .size:           8
        .value_kind:     global_buffer
      - .offset:         56
        .size:           4
        .value_kind:     by_value
      - .actual_access:  read_only
        .address_space:  global
        .offset:         64
        .size:           8
        .value_kind:     global_buffer
      - .actual_access:  read_only
        .address_space:  global
        .offset:         72
        .size:           8
        .value_kind:     global_buffer
      - .address_space:  global
        .offset:         80
        .size:           8
        .value_kind:     global_buffer
    .group_segment_fixed_size: 0
    .kernarg_segment_align: 8
    .kernarg_segment_size: 88
    .language:       OpenCL C
    .language_version:
      - 2
      - 0
    .max_flat_workgroup_size: 208
    .name:           fft_rtc_back_len104_factors_4_13_2_wgs_208_tpt_26_dim2_dp_ip_CI_sbcc_twdbase8_2step_dirReg_intrinsicReadWrite
    .private_segment_fixed_size: 0
    .sgpr_count:     48
    .sgpr_spill_count: 0
    .symbol:         fft_rtc_back_len104_factors_4_13_2_wgs_208_tpt_26_dim2_dp_ip_CI_sbcc_twdbase8_2step_dirReg_intrinsicReadWrite.kd
    .uniform_work_group_size: 1
    .uses_dynamic_stack: false
    .vgpr_count:     177
    .vgpr_spill_count: 0
    .wavefront_size: 64
amdhsa.target:   amdgcn-amd-amdhsa--gfx906
amdhsa.version:
  - 1
  - 2
...

	.end_amdgpu_metadata
